;; amdgpu-corpus repo=ROCm/rocFFT kind=compiled arch=gfx1201 opt=O3
	.text
	.amdgcn_target "amdgcn-amd-amdhsa--gfx1201"
	.amdhsa_code_object_version 6
	.protected	fft_rtc_back_len56_factors_2_4_7_wgs_56_tpt_14_dim1_sp_op_CI_CI_unitstride_sbrr_C2R_dirReg ; -- Begin function fft_rtc_back_len56_factors_2_4_7_wgs_56_tpt_14_dim1_sp_op_CI_CI_unitstride_sbrr_C2R_dirReg
	.globl	fft_rtc_back_len56_factors_2_4_7_wgs_56_tpt_14_dim1_sp_op_CI_CI_unitstride_sbrr_C2R_dirReg
	.p2align	8
	.type	fft_rtc_back_len56_factors_2_4_7_wgs_56_tpt_14_dim1_sp_op_CI_CI_unitstride_sbrr_C2R_dirReg,@function
fft_rtc_back_len56_factors_2_4_7_wgs_56_tpt_14_dim1_sp_op_CI_CI_unitstride_sbrr_C2R_dirReg: ; @fft_rtc_back_len56_factors_2_4_7_wgs_56_tpt_14_dim1_sp_op_CI_CI_unitstride_sbrr_C2R_dirReg
; %bb.0:
	s_load_b128 s[4:7], s[0:1], 0x18
	v_mul_u32_u24_e32 v2, 0x124a, v0
	v_mov_b32_e32 v15, 0
                                        ; implicit-def: $vgpr3
                                        ; implicit-def: $vgpr12
	s_delay_alu instid0(VALU_DEP_2) | instskip(SKIP_1) | instid1(VALU_DEP_2)
	v_lshrrev_b32_e32 v1, 16, v2
	v_bfe_u32 v2, v2, 16, 2
	v_lshl_add_u32 v14, ttmp9, 2, v1
	s_wait_kmcnt 0x0
	s_delay_alu instid0(VALU_DEP_1) | instskip(SKIP_1) | instid1(VALU_DEP_1)
	v_cmp_gt_u64_e32 vcc_lo, s[6:7], v[14:15]
	v_cmp_le_u64_e64 s2, s[6:7], v[14:15]
	s_and_saveexec_b32 s3, s2
	s_delay_alu instid0(SALU_CYCLE_1)
	s_xor_b32 s2, exec_lo, s3
; %bb.1:
	v_and_b32_e32 v1, 0xffff, v0
	s_delay_alu instid0(VALU_DEP_1) | instskip(NEXT) | instid1(VALU_DEP_1)
	v_mul_u32_u24_e32 v1, 0x124a, v1
	v_lshrrev_b32_e32 v1, 16, v1
	s_delay_alu instid0(VALU_DEP_1) | instskip(NEXT) | instid1(VALU_DEP_1)
	v_mul_lo_u16 v1, v1, 14
	v_sub_nc_u16 v3, v0, v1
                                        ; implicit-def: $vgpr1
                                        ; implicit-def: $vgpr0
	s_delay_alu instid0(VALU_DEP_1)
	v_and_b32_e32 v12, 0xffff, v3
; %bb.2:
	s_or_saveexec_b32 s3, s2
	s_load_b64 s[6:7], s[0:1], 0x0
	s_load_b64 s[4:5], s[4:5], 0x8
	v_mul_u32_u24_e32 v4, 57, v2
	s_delay_alu instid0(VALU_DEP_1)
	v_lshlrev_b32_e32 v2, 3, v4
	s_xor_b32 exec_lo, exec_lo, s3
	s_cbranch_execz .LBB0_6
; %bb.3:
	s_clause 0x1
	s_load_b64 s[8:9], s[0:1], 0x10
	s_load_b64 s[10:11], s[0:1], 0x50
	v_mul_lo_u16 v1, v1, 14
	s_wait_kmcnt 0x0
	s_load_b64 s[8:9], s[8:9], 0x8
	s_wait_kmcnt 0x0
	v_mad_co_u64_u32 v[5:6], null, s8, v14, 0
	s_mov_b32 s8, exec_lo
	s_delay_alu instid0(VALU_DEP_1) | instskip(NEXT) | instid1(VALU_DEP_1)
	v_mov_b32_e32 v3, v6
	v_mad_co_u64_u32 v[6:7], null, s9, v14, v[3:4]
	v_sub_nc_u16 v3, v0, v1
	s_delay_alu instid0(VALU_DEP_1) | instskip(NEXT) | instid1(VALU_DEP_3)
	v_and_b32_e32 v12, 0xffff, v3
	v_lshlrev_b64_e32 v[0:1], 3, v[5:6]
	s_delay_alu instid0(VALU_DEP_2) | instskip(NEXT) | instid1(VALU_DEP_2)
	v_lshlrev_b32_e32 v11, 3, v12
	v_add_co_u32 v0, s2, s10, v0
	s_delay_alu instid0(VALU_DEP_1) | instskip(NEXT) | instid1(VALU_DEP_2)
	v_add_co_ci_u32_e64 v1, s2, s11, v1, s2
	v_add_co_u32 v5, s2, v0, v11
	s_wait_alu 0xf1ff
	s_delay_alu instid0(VALU_DEP_2)
	v_add_co_ci_u32_e64 v6, s2, 0, v1, s2
	s_clause 0x3
	global_load_b64 v[7:8], v[5:6], off
	global_load_b64 v[9:10], v[5:6], off offset:112
	global_load_b64 v[15:16], v[5:6], off offset:224
	;; [unrolled: 1-line block ×3, first 2 shown]
	v_add3_u32 v5, 0, v2, v11
	s_wait_loadcnt 0x2
	ds_store_2addr_b64 v5, v[7:8], v[9:10] offset1:14
	s_wait_loadcnt 0x0
	ds_store_2addr_b64 v5, v[15:16], v[17:18] offset0:28 offset1:42
	v_cmpx_eq_u16_e32 13, v3
	s_cbranch_execz .LBB0_5
; %bb.4:
	global_load_b64 v[0:1], v[0:1], off offset:448
	v_dual_mov_b32 v3, 13 :: v_dual_mov_b32 v12, 13
	s_wait_loadcnt 0x0
	ds_store_b64 v5, v[0:1] offset:344
.LBB0_5:
	s_wait_alu 0xfffe
	s_or_b32 exec_lo, exec_lo, s8
.LBB0_6:
	s_delay_alu instid0(SALU_CYCLE_1)
	s_or_b32 exec_lo, exec_lo, s3
	v_lshl_add_u32 v17, v4, 3, 0
	v_lshlrev_b32_e32 v4, 3, v12
	global_wb scope:SCOPE_SE
	s_wait_dscnt 0x0
	s_wait_kmcnt 0x0
	s_barrier_signal -1
	s_barrier_wait -1
	global_inv scope:SCOPE_SE
	v_add_nc_u32_e32 v18, v17, v4
	v_sub_nc_u32_e32 v5, v17, v4
	v_cmp_ne_u16_e64 s2, 0, v3
	ds_load_b32 v6, v18
	ds_load_b32 v7, v5 offset:448
	s_wait_dscnt 0x0
	v_dual_sub_f32 v1, v6, v7 :: v_dual_add_f32 v0, v7, v6
	s_and_saveexec_b32 s3, s2
	s_wait_alu 0xfffe
	s_xor_b32 s2, exec_lo, s3
	s_cbranch_execz .LBB0_8
; %bb.7:
	v_dual_add_f32 v10, v7, v6 :: v_dual_sub_f32 v11, v6, v7
	v_and_b32_e32 v0, 0xffff, v3
	s_delay_alu instid0(VALU_DEP_1)
	v_lshlrev_b32_e32 v0, 3, v0
	global_load_b64 v[8:9], v0, s[6:7] offset:432
	ds_load_b32 v0, v5 offset:452
	ds_load_b32 v1, v18 offset:4
	s_wait_dscnt 0x0
	v_dual_add_f32 v13, v0, v1 :: v_dual_sub_f32 v0, v1, v0
	s_wait_loadcnt 0x0
	v_fma_f32 v6, -v11, v9, v10
	s_delay_alu instid0(VALU_DEP_2) | instskip(SKIP_2) | instid1(VALU_DEP_3)
	v_fma_f32 v7, v13, v9, -v0
	v_fma_f32 v15, v11, v9, v10
	v_fma_f32 v1, v13, v9, v0
	v_dual_fmac_f32 v6, v8, v13 :: v_dual_fmac_f32 v7, v11, v8
	s_delay_alu instid0(VALU_DEP_3) | instskip(NEXT) | instid1(VALU_DEP_3)
	v_fma_f32 v0, -v8, v13, v15
	v_fmac_f32_e32 v1, v11, v8
	ds_store_b64 v5, v[6:7] offset:448
.LBB0_8:
	s_wait_alu 0xfffe
	s_and_not1_saveexec_b32 s2, s2
	s_cbranch_execz .LBB0_10
; %bb.9:
	ds_load_b64 v[6:7], v17 offset:224
	s_wait_dscnt 0x0
	v_dual_add_f32 v6, v6, v6 :: v_dual_mul_f32 v7, -2.0, v7
	ds_store_b64 v17, v[6:7] offset:224
.LBB0_10:
	s_wait_alu 0xfffe
	s_or_b32 exec_lo, exec_lo, s2
	v_mov_b32_e32 v13, 0
	s_add_nc_u64 s[2:3], s[6:7], 0x1b0
	ds_store_b64 v18, v[0:1]
	v_and_b32_e32 v21, 1, v12
	v_lshlrev_b32_e32 v22, 2, v12
	v_lshlrev_b64_e32 v[6:7], 3, v[12:13]
	s_wait_alu 0xfffe
	s_delay_alu instid0(VALU_DEP_1) | instskip(SKIP_1) | instid1(VALU_DEP_2)
	v_add_co_u32 v6, s2, s2, v6
	s_wait_alu 0xf1ff
	v_add_co_ci_u32_e64 v7, s2, s3, v7, s2
	v_cmp_gt_u16_e64 s2, 8, v3
	global_load_b64 v[6:7], v[6:7], off offset:112
	ds_load_b64 v[0:1], v18 offset:112
	ds_load_b64 v[8:9], v5 offset:336
	s_wait_dscnt 0x0
	v_dual_add_f32 v10, v0, v8 :: v_dual_add_f32 v11, v9, v1
	v_dual_sub_f32 v13, v0, v8 :: v_dual_sub_f32 v0, v1, v9
	s_wait_loadcnt 0x0
	s_delay_alu instid0(VALU_DEP_1) | instskip(NEXT) | instid1(VALU_DEP_2)
	v_fma_f32 v15, v13, v7, v10
	v_fma_f32 v1, v11, v7, v0
	v_fma_f32 v9, v11, v7, -v0
	v_fma_f32 v8, -v13, v7, v10
	s_delay_alu instid0(VALU_DEP_4) | instskip(NEXT) | instid1(VALU_DEP_4)
	v_fma_f32 v0, -v6, v11, v15
	v_fmac_f32_e32 v1, v13, v6
	s_delay_alu instid0(VALU_DEP_4)
	v_fmac_f32_e32 v9, v13, v6
	v_add3_u32 v13, 0, v4, v2
	v_fmac_f32_e32 v8, v6, v11
	ds_store_b64 v18, v[0:1] offset:112
	ds_store_b64 v5, v[8:9] offset:336
	global_wb scope:SCOPE_SE
	s_wait_dscnt 0x0
	s_barrier_signal -1
	s_barrier_wait -1
	global_inv scope:SCOPE_SE
	global_wb scope:SCOPE_SE
	s_barrier_signal -1
	s_barrier_wait -1
	global_inv scope:SCOPE_SE
	ds_load_2addr_b64 v[5:8], v13 offset0:14 offset1:28
	ds_load_b64 v[0:1], v18
	ds_load_b64 v[9:10], v13 offset:336
	v_mul_u32_u24_e32 v15, 3, v21
	v_add_nc_u32_e32 v16, v13, v4
	v_lshlrev_b32_e32 v11, 4, v12
	global_wb scope:SCOPE_SE
	s_wait_dscnt 0x0
	s_barrier_signal -1
	v_lshlrev_b32_e32 v15, 3, v15
	s_barrier_wait -1
	v_add3_u32 v11, v11, 0, v2
	global_inv scope:SCOPE_SE
	v_dual_sub_f32 v8, v1, v8 :: v_dual_sub_f32 v7, v0, v7
	v_dual_sub_f32 v9, v5, v9 :: v_dual_sub_f32 v10, v6, v10
	s_delay_alu instid0(VALU_DEP_2) | instskip(NEXT) | instid1(VALU_DEP_3)
	v_fma_f32 v1, v1, 2.0, -v8
	v_fma_f32 v0, v0, 2.0, -v7
	s_delay_alu instid0(VALU_DEP_3) | instskip(NEXT) | instid1(VALU_DEP_4)
	v_fma_f32 v4, v5, 2.0, -v9
	v_fma_f32 v5, v6, 2.0, -v10
	ds_store_2addr_b64 v16, v[0:1], v[7:8] offset1:1
	ds_store_2addr_b64 v11, v[4:5], v[9:10] offset0:28 offset1:29
	global_wb scope:SCOPE_SE
	s_wait_dscnt 0x0
	s_barrier_signal -1
	s_barrier_wait -1
	global_inv scope:SCOPE_SE
	s_clause 0x1
	global_load_b128 v[4:7], v15, s[6:7]
	global_load_b64 v[0:1], v15, s[6:7] offset:16
	ds_load_2addr_b64 v[8:11], v13 offset0:14 offset1:28
	ds_load_b64 v[15:16], v13 offset:336
	ds_load_b64 v[19:20], v18
	global_wb scope:SCOPE_SE
	s_wait_loadcnt_dscnt 0x0
	s_barrier_signal -1
	s_barrier_wait -1
	global_inv scope:SCOPE_SE
	v_mul_f32_e32 v3, v5, v9
	v_mul_f32_e32 v5, v5, v8
	v_dual_mul_f32 v23, v7, v11 :: v_dual_mul_f32 v24, v1, v16
	v_mul_f32_e32 v7, v7, v10
	v_mul_f32_e32 v1, v1, v15
	v_fmac_f32_e32 v3, v4, v8
	v_fma_f32 v4, v4, v9, -v5
	v_fmac_f32_e32 v23, v6, v10
	v_fma_f32 v5, v6, v11, -v7
	;; [unrolled: 2-line block ×3, first 2 shown]
	v_and_or_b32 v1, v22, 56, v21
	s_delay_alu instid0(VALU_DEP_4) | instskip(NEXT) | instid1(VALU_DEP_4)
	v_dual_sub_f32 v6, v19, v23 :: v_dual_sub_f32 v7, v20, v5
	v_sub_f32_e32 v5, v3, v24
	s_delay_alu instid0(VALU_DEP_3) | instskip(NEXT) | instid1(VALU_DEP_3)
	v_dual_sub_f32 v0, v4, v0 :: v_dual_lshlrev_b32 v1, 3, v1
	v_fma_f32 v8, v19, 2.0, -v6
	s_delay_alu instid0(VALU_DEP_4) | instskip(NEXT) | instid1(VALU_DEP_4)
	v_fma_f32 v9, v20, 2.0, -v7
	v_fma_f32 v3, v3, 2.0, -v5
	s_delay_alu instid0(VALU_DEP_4) | instskip(SKIP_2) | instid1(VALU_DEP_3)
	v_fma_f32 v10, v4, 2.0, -v0
	v_add3_u32 v11, 0, v1, v2
	v_dual_add_f32 v4, v6, v0 :: v_dual_sub_f32 v5, v7, v5
	v_dual_sub_f32 v2, v8, v3 :: v_dual_sub_f32 v3, v9, v10
	s_delay_alu instid0(VALU_DEP_2) | instskip(NEXT) | instid1(VALU_DEP_3)
	v_fma_f32 v0, v6, 2.0, -v4
	v_fma_f32 v1, v7, 2.0, -v5
	s_delay_alu instid0(VALU_DEP_3) | instskip(NEXT) | instid1(VALU_DEP_4)
	v_fma_f32 v15, v8, 2.0, -v2
	v_fma_f32 v16, v9, 2.0, -v3
	ds_store_2addr_b64 v11, v[2:3], v[4:5] offset0:4 offset1:6
	ds_store_2addr_b64 v11, v[15:16], v[0:1] offset1:2
	global_wb scope:SCOPE_SE
	s_wait_dscnt 0x0
	s_barrier_signal -1
	s_barrier_wait -1
	global_inv scope:SCOPE_SE
                                        ; implicit-def: $vgpr11
	s_and_saveexec_b32 s3, s2
	s_cbranch_execz .LBB0_12
; %bb.11:
	ds_load_b64 v[15:16], v18
	ds_load_2addr_b64 v[0:3], v13 offset0:8 offset1:16
	ds_load_2addr_b64 v[4:7], v13 offset0:24 offset1:32
	ds_load_2addr_b64 v[8:11], v13 offset0:40 offset1:48
.LBB0_12:
	s_wait_alu 0xfffe
	s_or_b32 exec_lo, exec_lo, s3
	global_wb scope:SCOPE_SE
	s_wait_dscnt 0x0
	s_barrier_signal -1
	s_barrier_wait -1
	global_inv scope:SCOPE_SE
	s_and_saveexec_b32 s3, s2
	s_cbranch_execz .LBB0_14
; %bb.13:
	v_and_b32_e32 v19, 7, v12
	s_delay_alu instid0(VALU_DEP_1) | instskip(NEXT) | instid1(VALU_DEP_1)
	v_mul_u32_u24_e32 v19, 6, v19
	v_lshlrev_b32_e32 v27, 3, v19
	s_clause 0x2
	global_load_b128 v[19:22], v27, s[6:7] offset:48
	global_load_b128 v[23:26], v27, s[6:7] offset:80
	;; [unrolled: 1-line block ×3, first 2 shown]
	s_wait_loadcnt 0x1
	v_dual_mul_f32 v31, v1, v20 :: v_dual_mul_f32 v32, v11, v26
	v_mul_f32_e32 v26, v10, v26
	v_dual_mul_f32 v35, v3, v22 :: v_dual_mul_f32 v20, v0, v20
	s_wait_loadcnt 0x0
	v_dual_mul_f32 v33, v7, v30 :: v_dual_mul_f32 v36, v9, v24
	v_mul_f32_e32 v34, v5, v28
	v_mul_f32_e32 v28, v4, v28
	v_dual_mul_f32 v30, v6, v30 :: v_dual_fmac_f32 v31, v0, v19
	v_dual_mul_f32 v24, v8, v24 :: v_dual_fmac_f32 v35, v2, v21
	v_fma_f32 v0, v11, v25, -v26
	v_fma_f32 v1, v1, v19, -v20
	v_mul_f32_e32 v22, v2, v22
	v_fmac_f32_e32 v33, v6, v29
	v_fma_f32 v2, v5, v27, -v28
	v_fma_f32 v5, v9, v23, -v24
	v_add_f32_e32 v9, v1, v0
	v_fma_f32 v3, v3, v21, -v22
	v_fmac_f32_e32 v34, v4, v27
	v_fma_f32 v4, v7, v29, -v30
	s_delay_alu instid0(VALU_DEP_3) | instskip(NEXT) | instid1(VALU_DEP_3)
	v_add_f32_e32 v11, v3, v5
	v_dual_fmac_f32 v32, v10, v25 :: v_dual_sub_f32 v7, v33, v34
	v_fmac_f32_e32 v36, v8, v23
	s_delay_alu instid0(VALU_DEP_3) | instskip(NEXT) | instid1(VALU_DEP_3)
	v_dual_add_f32 v10, v2, v4 :: v_dual_add_f32 v23, v11, v9
	v_sub_f32_e32 v6, v31, v32
	v_dual_add_f32 v19, v31, v32 :: v_dual_add_f32 v20, v34, v33
	s_delay_alu instid0(VALU_DEP_4) | instskip(SKIP_3) | instid1(VALU_DEP_4)
	v_add_f32_e32 v21, v35, v36
	v_dual_sub_f32 v0, v1, v0 :: v_dual_sub_f32 v1, v4, v2
	v_sub_f32_e32 v8, v35, v36
	v_dual_sub_f32 v2, v3, v5 :: v_dual_sub_f32 v3, v6, v7
	v_dual_sub_f32 v25, v20, v21 :: v_dual_add_f32 v26, v21, v19
	s_delay_alu instid0(VALU_DEP_3)
	v_dual_sub_f32 v4, v7, v8 :: v_dual_sub_f32 v27, v0, v1
	v_dual_add_f32 v5, v7, v8 :: v_dual_sub_f32 v22, v10, v11
	v_dual_sub_f32 v7, v9, v10 :: v_dual_sub_f32 v24, v19, v20
	v_sub_f32_e32 v28, v1, v2
	v_add_f32_e32 v1, v1, v2
	v_dual_sub_f32 v8, v8, v6 :: v_dual_sub_f32 v9, v11, v9
	v_sub_f32_e32 v11, v21, v19
	v_dual_add_f32 v10, v10, v23 :: v_dual_mul_f32 v21, 0x3d64c772, v25
	v_mul_f32_e32 v4, 0x3f08b237, v4
	v_dual_mul_f32 v19, 0x3f4a47b2, v24 :: v_dual_add_f32 v20, v20, v26
	v_mul_f32_e32 v23, 0x3f08b237, v28
	v_dual_sub_f32 v2, v2, v0 :: v_dual_add_f32 v5, v5, v6
	v_add_f32_e32 v24, v1, v0
	v_dual_mul_f32 v26, 0xbf5ff5aa, v8 :: v_dual_add_f32 v1, v16, v10
	v_fmamk_f32 v29, v3, 0xbeae86e6, v4
	v_fmamk_f32 v16, v25, 0x3d64c772, v19
	v_mul_f32_e32 v6, 0x3f4a47b2, v7
	v_dual_mul_f32 v7, 0x3d64c772, v22 :: v_dual_add_f32 v0, v15, v20
	s_delay_alu instid0(VALU_DEP_4) | instskip(SKIP_1) | instid1(VALU_DEP_4)
	v_fmac_f32_e32 v29, 0xbee1c552, v5
	v_fma_f32 v25, 0x3eae86e6, v3, -v26
	v_fma_f32 v3, 0xbf3bfb3b, v9, -v6
	s_delay_alu instid0(VALU_DEP_4)
	v_fma_f32 v7, 0x3f3bfb3b, v9, -v7
	v_fma_f32 v4, 0xbf5ff5aa, v8, -v4
	;; [unrolled: 1-line block ×3, first 2 shown]
	v_dual_fmamk_f32 v9, v10, 0xbf955555, v1 :: v_dual_fmamk_f32 v10, v20, 0xbf955555, v0
	v_mul_f32_e32 v28, 0xbf5ff5aa, v2
	v_fma_f32 v2, 0x3f3bfb3b, v11, -v21
	v_fmamk_f32 v15, v27, 0xbeae86e6, v23
	v_dual_fmac_f32 v25, 0xbee1c552, v5 :: v_dual_fmac_f32 v8, 0xbee1c552, v24
	s_delay_alu instid0(VALU_DEP_3) | instskip(SKIP_3) | instid1(VALU_DEP_3)
	v_dual_fmac_f32 v4, 0xbee1c552, v5 :: v_dual_add_f32 v23, v2, v10
	v_dual_add_f32 v21, v16, v10 :: v_dual_fmamk_f32 v22, v22, 0x3d64c772, v6
	v_fma_f32 v6, 0xbf3bfb3b, v11, -v19
	v_add_f32_e32 v11, v3, v9
	v_add_f32_e32 v20, v22, v9
	;; [unrolled: 1-line block ×3, first 2 shown]
	v_fma_f32 v19, 0x3eae86e6, v27, -v28
	v_dual_fmac_f32 v15, 0xbee1c552, v24 :: v_dual_add_f32 v22, v6, v10
	s_delay_alu instid0(VALU_DEP_3) | instskip(NEXT) | instid1(VALU_DEP_2)
	v_dual_sub_f32 v16, v20, v29 :: v_dual_sub_f32 v7, v9, v4
	v_dual_fmac_f32 v19, 0xbee1c552, v24 :: v_dual_sub_f32 v2, v21, v15
	v_add_f32_e32 v9, v4, v9
	v_add_f32_e32 v5, v25, v11
	s_delay_alu instid0(VALU_DEP_3)
	v_dual_sub_f32 v11, v11, v25 :: v_dual_sub_f32 v4, v22, v19
	v_add_f32_e32 v10, v19, v22
	v_add_f32_e32 v15, v15, v21
	v_dual_add_f32 v3, v29, v20 :: v_dual_add_f32 v6, v8, v23
	v_sub_f32_e32 v8, v23, v8
	ds_store_b64 v18, v[0:1]
	ds_store_2addr_b64 v13, v[15:16], v[10:11] offset0:8 offset1:16
	ds_store_2addr_b64 v13, v[8:9], v[6:7] offset0:24 offset1:32
	;; [unrolled: 1-line block ×3, first 2 shown]
.LBB0_14:
	s_wait_alu 0xfffe
	s_or_b32 exec_lo, exec_lo, s3
	global_wb scope:SCOPE_SE
	s_wait_dscnt 0x0
	s_barrier_signal -1
	s_barrier_wait -1
	global_inv scope:SCOPE_SE
	s_and_saveexec_b32 s2, vcc_lo
	s_cbranch_execz .LBB0_16
; %bb.15:
	v_mad_co_u64_u32 v[4:5], null, s4, v14, 0
	s_load_b64 s[0:1], s[0:1], 0x58
	v_lshl_add_u32 v6, v12, 3, v17
	v_dual_mov_b32 v13, 0 :: v_dual_add_nc_u32 v10, 28, v12
	s_delay_alu instid0(VALU_DEP_1) | instskip(SKIP_1) | instid1(VALU_DEP_2)
	v_dual_mov_b32 v0, v5 :: v_dual_mov_b32 v9, v13
	v_mov_b32_e32 v11, v13
	v_mad_co_u64_u32 v[0:1], null, s5, v14, v[0:1]
	v_add_nc_u32_e32 v8, 14, v12
	v_lshlrev_b64_e32 v[14:15], 3, v[12:13]
	v_add_nc_u32_e32 v12, 42, v12
	v_lshlrev_b64_e32 v[10:11], 3, v[10:11]
	v_mov_b32_e32 v5, v0
	ds_load_2addr_b64 v[0:3], v6 offset1:14
	v_lshlrev_b64_e32 v[8:9], 3, v[8:9]
	v_lshlrev_b64_e32 v[12:13], 3, v[12:13]
	;; [unrolled: 1-line block ×3, first 2 shown]
	ds_load_2addr_b64 v[4:7], v6 offset0:28 offset1:42
	s_wait_kmcnt 0x0
	v_add_co_u32 v16, vcc_lo, s0, v16
	v_add_co_ci_u32_e32 v17, vcc_lo, s1, v17, vcc_lo
	s_delay_alu instid0(VALU_DEP_2) | instskip(SKIP_1) | instid1(VALU_DEP_2)
	v_add_co_u32 v14, vcc_lo, v16, v14
	s_wait_alu 0xfffd
	v_add_co_ci_u32_e32 v15, vcc_lo, v17, v15, vcc_lo
	v_add_co_u32 v8, vcc_lo, v16, v8
	s_wait_alu 0xfffd
	v_add_co_ci_u32_e32 v9, vcc_lo, v17, v9, vcc_lo
	;; [unrolled: 3-line block ×4, first 2 shown]
	s_wait_dscnt 0x1
	s_clause 0x1
	global_store_b64 v[14:15], v[0:1], off
	global_store_b64 v[8:9], v[2:3], off
	s_wait_dscnt 0x0
	s_clause 0x1
	global_store_b64 v[10:11], v[4:5], off
	global_store_b64 v[12:13], v[6:7], off
.LBB0_16:
	s_nop 0
	s_sendmsg sendmsg(MSG_DEALLOC_VGPRS)
	s_endpgm
	.section	.rodata,"a",@progbits
	.p2align	6, 0x0
	.amdhsa_kernel fft_rtc_back_len56_factors_2_4_7_wgs_56_tpt_14_dim1_sp_op_CI_CI_unitstride_sbrr_C2R_dirReg
		.amdhsa_group_segment_fixed_size 0
		.amdhsa_private_segment_fixed_size 0
		.amdhsa_kernarg_size 96
		.amdhsa_user_sgpr_count 2
		.amdhsa_user_sgpr_dispatch_ptr 0
		.amdhsa_user_sgpr_queue_ptr 0
		.amdhsa_user_sgpr_kernarg_segment_ptr 1
		.amdhsa_user_sgpr_dispatch_id 0
		.amdhsa_user_sgpr_private_segment_size 0
		.amdhsa_wavefront_size32 1
		.amdhsa_uses_dynamic_stack 0
		.amdhsa_enable_private_segment 0
		.amdhsa_system_sgpr_workgroup_id_x 1
		.amdhsa_system_sgpr_workgroup_id_y 0
		.amdhsa_system_sgpr_workgroup_id_z 0
		.amdhsa_system_sgpr_workgroup_info 0
		.amdhsa_system_vgpr_workitem_id 0
		.amdhsa_next_free_vgpr 37
		.amdhsa_next_free_sgpr 12
		.amdhsa_reserve_vcc 1
		.amdhsa_float_round_mode_32 0
		.amdhsa_float_round_mode_16_64 0
		.amdhsa_float_denorm_mode_32 3
		.amdhsa_float_denorm_mode_16_64 3
		.amdhsa_fp16_overflow 0
		.amdhsa_workgroup_processor_mode 1
		.amdhsa_memory_ordered 1
		.amdhsa_forward_progress 0
		.amdhsa_round_robin_scheduling 0
		.amdhsa_exception_fp_ieee_invalid_op 0
		.amdhsa_exception_fp_denorm_src 0
		.amdhsa_exception_fp_ieee_div_zero 0
		.amdhsa_exception_fp_ieee_overflow 0
		.amdhsa_exception_fp_ieee_underflow 0
		.amdhsa_exception_fp_ieee_inexact 0
		.amdhsa_exception_int_div_zero 0
	.end_amdhsa_kernel
	.text
.Lfunc_end0:
	.size	fft_rtc_back_len56_factors_2_4_7_wgs_56_tpt_14_dim1_sp_op_CI_CI_unitstride_sbrr_C2R_dirReg, .Lfunc_end0-fft_rtc_back_len56_factors_2_4_7_wgs_56_tpt_14_dim1_sp_op_CI_CI_unitstride_sbrr_C2R_dirReg
                                        ; -- End function
	.section	.AMDGPU.csdata,"",@progbits
; Kernel info:
; codeLenInByte = 2680
; NumSgprs: 14
; NumVgprs: 37
; ScratchSize: 0
; MemoryBound: 0
; FloatMode: 240
; IeeeMode: 1
; LDSByteSize: 0 bytes/workgroup (compile time only)
; SGPRBlocks: 1
; VGPRBlocks: 4
; NumSGPRsForWavesPerEU: 14
; NumVGPRsForWavesPerEU: 37
; Occupancy: 16
; WaveLimiterHint : 1
; COMPUTE_PGM_RSRC2:SCRATCH_EN: 0
; COMPUTE_PGM_RSRC2:USER_SGPR: 2
; COMPUTE_PGM_RSRC2:TRAP_HANDLER: 0
; COMPUTE_PGM_RSRC2:TGID_X_EN: 1
; COMPUTE_PGM_RSRC2:TGID_Y_EN: 0
; COMPUTE_PGM_RSRC2:TGID_Z_EN: 0
; COMPUTE_PGM_RSRC2:TIDIG_COMP_CNT: 0
	.text
	.p2alignl 7, 3214868480
	.fill 96, 4, 3214868480
	.type	__hip_cuid_5f38239cd852b0a3,@object ; @__hip_cuid_5f38239cd852b0a3
	.section	.bss,"aw",@nobits
	.globl	__hip_cuid_5f38239cd852b0a3
__hip_cuid_5f38239cd852b0a3:
	.byte	0                               ; 0x0
	.size	__hip_cuid_5f38239cd852b0a3, 1

	.ident	"AMD clang version 19.0.0git (https://github.com/RadeonOpenCompute/llvm-project roc-6.4.0 25133 c7fe45cf4b819c5991fe208aaa96edf142730f1d)"
	.section	".note.GNU-stack","",@progbits
	.addrsig
	.addrsig_sym __hip_cuid_5f38239cd852b0a3
	.amdgpu_metadata
---
amdhsa.kernels:
  - .args:
      - .actual_access:  read_only
        .address_space:  global
        .offset:         0
        .size:           8
        .value_kind:     global_buffer
      - .actual_access:  read_only
        .address_space:  global
        .offset:         8
        .size:           8
        .value_kind:     global_buffer
      - .actual_access:  read_only
        .address_space:  global
        .offset:         16
        .size:           8
        .value_kind:     global_buffer
      - .actual_access:  read_only
        .address_space:  global
        .offset:         24
        .size:           8
        .value_kind:     global_buffer
      - .offset:         32
        .size:           8
        .value_kind:     by_value
      - .actual_access:  read_only
        .address_space:  global
        .offset:         40
        .size:           8
        .value_kind:     global_buffer
      - .actual_access:  read_only
        .address_space:  global
        .offset:         48
        .size:           8
        .value_kind:     global_buffer
      - .offset:         56
        .size:           4
        .value_kind:     by_value
      - .actual_access:  read_only
        .address_space:  global
        .offset:         64
        .size:           8
        .value_kind:     global_buffer
      - .actual_access:  read_only
        .address_space:  global
        .offset:         72
        .size:           8
        .value_kind:     global_buffer
      - .actual_access:  read_only
        .address_space:  global
        .offset:         80
        .size:           8
        .value_kind:     global_buffer
      - .actual_access:  write_only
        .address_space:  global
        .offset:         88
        .size:           8
        .value_kind:     global_buffer
    .group_segment_fixed_size: 0
    .kernarg_segment_align: 8
    .kernarg_segment_size: 96
    .language:       OpenCL C
    .language_version:
      - 2
      - 0
    .max_flat_workgroup_size: 56
    .name:           fft_rtc_back_len56_factors_2_4_7_wgs_56_tpt_14_dim1_sp_op_CI_CI_unitstride_sbrr_C2R_dirReg
    .private_segment_fixed_size: 0
    .sgpr_count:     14
    .sgpr_spill_count: 0
    .symbol:         fft_rtc_back_len56_factors_2_4_7_wgs_56_tpt_14_dim1_sp_op_CI_CI_unitstride_sbrr_C2R_dirReg.kd
    .uniform_work_group_size: 1
    .uses_dynamic_stack: false
    .vgpr_count:     37
    .vgpr_spill_count: 0
    .wavefront_size: 32
    .workgroup_processor_mode: 1
amdhsa.target:   amdgcn-amd-amdhsa--gfx1201
amdhsa.version:
  - 1
  - 2
...

	.end_amdgpu_metadata
